;; amdgpu-corpus repo=ROCm/rocFFT kind=compiled arch=gfx1030 opt=O3
	.text
	.amdgcn_target "amdgcn-amd-amdhsa--gfx1030"
	.amdhsa_code_object_version 6
	.protected	fft_rtc_back_len243_factors_9_9_3_wgs_108_tpt_27_halfLds_dim1_dp_op_CI_CI_unitstride_sbrr_R2C_dirReg ; -- Begin function fft_rtc_back_len243_factors_9_9_3_wgs_108_tpt_27_halfLds_dim1_dp_op_CI_CI_unitstride_sbrr_R2C_dirReg
	.globl	fft_rtc_back_len243_factors_9_9_3_wgs_108_tpt_27_halfLds_dim1_dp_op_CI_CI_unitstride_sbrr_R2C_dirReg
	.p2align	8
	.type	fft_rtc_back_len243_factors_9_9_3_wgs_108_tpt_27_halfLds_dim1_dp_op_CI_CI_unitstride_sbrr_R2C_dirReg,@function
fft_rtc_back_len243_factors_9_9_3_wgs_108_tpt_27_halfLds_dim1_dp_op_CI_CI_unitstride_sbrr_R2C_dirReg: ; @fft_rtc_back_len243_factors_9_9_3_wgs_108_tpt_27_halfLds_dim1_dp_op_CI_CI_unitstride_sbrr_R2C_dirReg
; %bb.0:
	s_clause 0x1
	s_load_dwordx2 s[0:1], s[4:5], 0x20
	s_load_dwordx2 s[8:9], s[4:5], 0x0
	v_mul_u32_u24_e32 v2, 0x97c, v0
	v_mov_b32_e32 v15, 0
                                        ; implicit-def: $vgpr19
                                        ; implicit-def: $vgpr12
                                        ; implicit-def: $vgpr17
	v_lshrrev_b32_e32 v1, 16, v2
	v_bfe_u32 v2, v2, 16, 2
	v_lshl_add_u32 v14, s6, 2, v1
	s_waitcnt lgkmcnt(0)
	v_cmp_gt_u64_e32 vcc_lo, s[0:1], v[14:15]
	v_cmp_le_u64_e64 s0, s[0:1], v[14:15]
                                        ; implicit-def: $vgpr15
	s_and_saveexec_b32 s1, s0
	s_xor_b32 s0, exec_lo, s1
; %bb.1:
	v_mov_b32_e32 v1, 0x97c
	v_mul_u32_u24_sdwa v1, v0, v1 dst_sel:DWORD dst_unused:UNUSED_PAD src0_sel:WORD_0 src1_sel:DWORD
	v_lshrrev_b32_e32 v1, 16, v1
	v_mul_lo_u16 v1, v1, 27
	v_sub_nc_u16 v19, v0, v1
                                        ; implicit-def: $vgpr1
                                        ; implicit-def: $vgpr0
	v_and_b32_e32 v12, 0xffff, v19
	v_add_nc_u32_e32 v15, 27, v12
	v_add_nc_u32_e32 v17, 54, v12
; %bb.2:
	s_or_saveexec_b32 s1, s0
	s_load_dwordx2 s[2:3], s[4:5], 0x18
	v_mul_u32_u24_e32 v2, 0xf4, v2
	v_lshlrev_b32_e32 v2, 4, v2
	s_xor_b32 exec_lo, exec_lo, s1
	s_cbranch_execz .LBB0_4
; %bb.3:
	s_clause 0x1
	s_load_dwordx2 s[6:7], s[4:5], 0x10
	s_load_dwordx2 s[10:11], s[4:5], 0x50
	v_mul_lo_u16 v1, v1, 27
	v_sub_nc_u16 v19, v0, v1
	v_and_b32_e32 v12, 0xffff, v19
	v_lshlrev_b32_e32 v11, 4, v12
	v_add_nc_u32_e32 v17, 54, v12
	s_waitcnt lgkmcnt(0)
	s_load_dwordx2 s[6:7], s[6:7], 0x8
	s_waitcnt lgkmcnt(0)
	v_mad_u64_u32 v[3:4], null, s6, v14, 0
	v_mad_u64_u32 v[4:5], null, s7, v14, v[4:5]
	v_lshlrev_b64 v[0:1], 4, v[3:4]
	v_add_co_u32 v0, s0, s10, v0
	v_add_co_ci_u32_e64 v1, s0, s11, v1, s0
	v_add_co_u32 v0, s0, v0, v11
	v_add_co_ci_u32_e64 v1, s0, 0, v1, s0
	;; [unrolled: 2-line block ×3, first 2 shown]
	s_clause 0x8
	global_load_dwordx4 v[3:6], v[0:1], off
	global_load_dwordx4 v[7:10], v[0:1], off offset:432
	global_load_dwordx4 v[20:23], v[0:1], off offset:864
	;; [unrolled: 1-line block ×8, first 2 shown]
	v_add3_u32 v0, 0, v2, v11
	v_add_nc_u32_e32 v15, 27, v12
	s_waitcnt vmcnt(8)
	ds_write_b128 v0, v[3:6]
	s_waitcnt vmcnt(7)
	ds_write_b128 v0, v[7:10] offset:432
	s_waitcnt vmcnt(6)
	ds_write_b128 v0, v[20:23] offset:864
	;; [unrolled: 2-line block ×8, first 2 shown]
.LBB0_4:
	s_or_b32 exec_lo, exec_lo, s1
	v_lshlrev_b32_e32 v0, 4, v12
	v_add_nc_u32_e32 v20, 0, v2
	s_waitcnt lgkmcnt(0)
	s_load_dwordx2 s[2:3], s[2:3], 0x8
	s_waitcnt lgkmcnt(0)
	s_barrier
	v_add3_u32 v1, 0, v0, v2
	buffer_gl0_inv
	v_add_nc_u32_e32 v21, v20, v0
	s_mov_b32 s14, 0x523c161c
	s_mov_b32 s10, 0x8c811c17
	ds_read_b128 v[3:6], v1 offset:432
	ds_read_b128 v[7:10], v1 offset:3456
	;; [unrolled: 1-line block ×6, first 2 shown]
	ds_read_b128 v[38:41], v21
	ds_read_b128 v[42:45], v1 offset:2592
	ds_read_b128 v[46:49], v1 offset:1296
	s_mov_b32 s15, 0x3fe491b7
	s_mov_b32 s11, 0x3fef838b
	;; [unrolled: 1-line block ×15, first 2 shown]
	s_waitcnt lgkmcnt(7)
	v_add_f64 v[50:51], v[3:4], -v[7:8]
	v_add_f64 v[54:55], v[5:6], -v[9:10]
	s_waitcnt lgkmcnt(5)
	v_add_f64 v[52:53], v[22:23], -v[26:27]
	v_add_f64 v[56:57], v[24:25], -v[28:29]
	v_add_f64 v[3:4], v[3:4], v[7:8]
	v_add_f64 v[7:8], v[22:23], v[26:27]
	s_waitcnt lgkmcnt(3)
	v_add_f64 v[58:59], v[34:35], v[30:31]
	v_add_f64 v[5:6], v[5:6], v[9:10]
	;; [unrolled: 1-line block ×4, first 2 shown]
	v_add_f64 v[30:31], v[34:35], -v[30:31]
	v_add_f64 v[32:33], v[36:37], -v[32:33]
	s_waitcnt lgkmcnt(0)
	v_add_f64 v[72:73], v[46:47], v[42:43]
	v_add_f64 v[42:43], v[46:47], -v[42:43]
	v_add_f64 v[74:75], v[48:49], v[44:45]
	v_add_f64 v[44:45], v[48:49], -v[44:45]
	s_mov_b32 s21, 0x3fd5e3a8
	s_barrier
	buffer_gl0_inv
	v_mul_f64 v[34:35], v[50:51], s[14:15]
	v_mul_f64 v[36:37], v[54:55], s[14:15]
	;; [unrolled: 1-line block ×6, first 2 shown]
	v_fma_f64 v[70:71], v[3:4], s[16:17], v[38:39]
	v_fma_f64 v[46:47], v[7:8], s[16:17], v[38:39]
	;; [unrolled: 1-line block ×6, first 2 shown]
	v_add_f64 v[48:49], v[58:59], v[3:4]
	v_add_f64 v[84:85], v[9:10], v[5:6]
	;; [unrolled: 1-line block ×6, first 2 shown]
	v_fma_f64 v[34:35], v[30:31], s[10:11], v[34:35]
	v_fma_f64 v[36:37], v[32:33], s[10:11], v[36:37]
	;; [unrolled: 1-line block ×3, first 2 shown]
	v_fma_f64 v[64:65], v[30:31], s[12:13], -v[64:65]
	v_fma_f64 v[66:67], v[54:55], s[10:11], v[66:67]
	v_fma_f64 v[68:69], v[32:33], s[12:13], -v[68:69]
	v_fma_f64 v[70:71], v[58:59], s[22:23], v[70:71]
	v_fma_f64 v[46:47], v[3:4], s[22:23], v[46:47]
	;; [unrolled: 1-line block ×10, first 2 shown]
	v_add_f64 v[64:65], v[72:73], v[48:49]
	v_fma_f64 v[66:67], v[44:45], s[6:7], v[66:67]
	v_fma_f64 v[44:45], v[44:45], s[0:1], v[68:69]
	v_add_f64 v[68:69], v[74:75], v[84:85]
	v_add_f64 v[48:49], v[7:8], v[48:49]
	v_add_f64 v[84:85], v[60:61], v[84:85]
	v_fma_f64 v[70:71], v[72:73], -0.5, v[70:71]
	v_fma_f64 v[46:47], v[72:73], -0.5, v[46:47]
	;; [unrolled: 1-line block ×6, first 2 shown]
	v_add_f64 v[82:83], v[92:93], -v[32:33]
	v_add_f64 v[80:81], v[90:91], -v[30:31]
	v_fma_f64 v[62:63], v[30:31], s[20:21], v[62:63]
	v_add_f64 v[22:23], v[22:23], v[64:65]
	v_fma_f64 v[44:45], v[54:55], s[20:21], v[44:45]
	v_add_f64 v[24:25], v[24:25], v[68:69]
	v_fma_f64 v[48:49], v[48:49], -0.5, v[86:87]
	v_fma_f64 v[64:65], v[84:85], -0.5, v[88:89]
	v_fma_f64 v[68:69], v[7:8], s[18:19], v[70:71]
	v_fma_f64 v[70:71], v[52:53], s[20:21], v[34:35]
	;; [unrolled: 1-line block ×10, first 2 shown]
	v_mul_f64 v[36:37], v[80:81], s[0:1]
	v_mul_f64 v[42:43], v[82:83], s[0:1]
	v_add_f64 v[46:47], v[26:27], v[22:23]
	v_fma_f64 v[5:6], v[82:83], s[6:7], v[48:49]
	v_add_f64 v[48:49], v[28:29], v[24:25]
	v_fma_f64 v[7:8], v[80:81], s[0:1], v[64:65]
	v_add_f64 v[22:23], v[68:69], -v[52:53]
	v_add_f64 v[26:27], v[30:31], -v[56:57]
	;; [unrolled: 1-line block ×3, first 2 shown]
	v_add_f64 v[32:33], v[58:59], v[32:33]
	v_add_f64 v[28:29], v[62:63], v[9:10]
	;; [unrolled: 1-line block ×3, first 2 shown]
	v_and_b32_e32 v3, 0xff, v19
	v_mov_b32_e32 v9, 7
	v_lshl_add_u32 v10, v12, 7, v1
	v_mul_lo_u16 v3, v3, 57
	v_add_f64 v[38:39], v[38:39], v[46:47]
	v_lshrrev_b16 v4, 9, v3
	v_add_f64 v[40:41], v[40:41], v[48:49]
	v_fma_f64 v[34:35], v[42:43], 2.0, v[5:6]
	v_fma_f64 v[36:37], v[36:37], -2.0, v[7:8]
	v_fma_f64 v[42:43], v[52:53], 2.0, v[22:23]
	v_mul_lo_u16 v3, v4, 9
	v_fma_f64 v[46:47], v[56:57], 2.0, v[26:27]
	v_and_b32_e32 v11, 0xffff, v4
	v_fma_f64 v[50:51], v[44:45], 2.0, v[30:31]
	v_fma_f64 v[52:53], v[58:59], -2.0, v[32:33]
	v_fma_f64 v[48:49], v[62:63], -2.0, v[28:29]
	;; [unrolled: 1-line block ×3, first 2 shown]
	v_sub_nc_u16 v3, v19, v3
	v_mov_b32_e32 v4, 4
	v_mad_u32_u24 v11, 0x510, v11, 0
	ds_write_b128 v10, v[5:8] offset:48
	ds_write_b128 v10, v[38:41]
	ds_write_b128 v10, v[22:25] offset:16
	ds_write_b128 v10, v[26:29] offset:32
	;; [unrolled: 1-line block ×7, first 2 shown]
	v_lshlrev_b32_sdwa v9, v9, v3 dst_sel:DWORD dst_unused:UNUSED_PAD src0_sel:DWORD src1_sel:BYTE_0
	s_waitcnt lgkmcnt(0)
	s_barrier
	buffer_gl0_inv
	s_clause 0x7
	global_load_dwordx4 v[5:8], v9, s[8:9]
	global_load_dwordx4 v[24:27], v9, s[8:9] offset:48
	global_load_dwordx4 v[28:31], v9, s[8:9] offset:112
	global_load_dwordx4 v[32:35], v9, s[8:9] offset:64
	global_load_dwordx4 v[36:39], v9, s[8:9] offset:16
	global_load_dwordx4 v[40:43], v9, s[8:9] offset:96
	global_load_dwordx4 v[44:47], v9, s[8:9] offset:32
	global_load_dwordx4 v[48:51], v9, s[8:9] offset:80
	v_lshl_add_u32 v22, v15, 4, v20
	ds_read_b128 v[52:55], v22
	ds_read_b128 v[56:59], v1 offset:1728
	ds_read_b128 v[60:63], v1 offset:3456
	;; [unrolled: 1-line block ×3, first 2 shown]
	v_lshl_add_u32 v23, v17, 4, v20
	v_lshlrev_b32_sdwa v3, v4, v3 dst_sel:DWORD dst_unused:UNUSED_PAD src0_sel:DWORD src1_sel:BYTE_0
	v_add3_u32 v11, v11, v3, v2
	s_waitcnt vmcnt(7) lgkmcnt(3)
	v_mul_f64 v[76:77], v[54:55], v[7:8]
	v_mul_f64 v[78:79], v[52:53], v[7:8]
	ds_read_b128 v[7:10], v23
	ds_read_b128 v[68:71], v1 offset:3024
	s_waitcnt vmcnt(6) lgkmcnt(4)
	v_mul_f64 v[80:81], v[58:59], v[26:27]
	v_mul_f64 v[26:27], v[56:57], v[26:27]
	s_waitcnt vmcnt(5) lgkmcnt(3)
	v_mul_f64 v[82:83], v[62:63], v[30:31]
	s_waitcnt vmcnt(4) lgkmcnt(2)
	v_mul_f64 v[84:85], v[66:67], v[34:35]
	v_mul_f64 v[30:31], v[60:61], v[30:31]
	;; [unrolled: 1-line block ×3, first 2 shown]
	ds_read_b128 v[72:75], v1 offset:2592
	v_fma_f64 v[52:53], v[52:53], v[5:6], v[76:77]
	v_fma_f64 v[54:55], v[54:55], v[5:6], -v[78:79]
	s_waitcnt vmcnt(3) lgkmcnt(2)
	v_mul_f64 v[5:6], v[9:10], v[38:39]
	s_waitcnt vmcnt(2) lgkmcnt(1)
	v_mul_f64 v[76:77], v[70:71], v[42:43]
	v_mul_f64 v[38:39], v[7:8], v[38:39]
	;; [unrolled: 1-line block ×3, first 2 shown]
	v_fma_f64 v[56:57], v[56:57], v[24:25], v[80:81]
	v_fma_f64 v[58:59], v[58:59], v[24:25], -v[26:27]
	ds_read_b128 v[24:27], v1 offset:1296
	v_fma_f64 v[60:61], v[60:61], v[28:29], v[82:83]
	v_fma_f64 v[64:65], v[64:65], v[32:33], v[84:85]
	v_fma_f64 v[28:29], v[62:63], v[28:29], -v[30:31]
	v_fma_f64 v[30:31], v[66:67], v[32:33], -v[34:35]
	v_fma_f64 v[32:33], v[7:8], v[36:37], v[5:6]
	v_fma_f64 v[34:35], v[68:69], v[40:41], v[76:77]
	v_fma_f64 v[9:10], v[9:10], v[36:37], -v[38:39]
	v_fma_f64 v[36:37], v[70:71], v[40:41], -v[42:43]
	s_waitcnt vmcnt(1) lgkmcnt(0)
	v_mul_f64 v[38:39], v[26:27], v[46:47]
	v_mul_f64 v[40:41], v[24:25], v[46:47]
	s_waitcnt vmcnt(0)
	v_mul_f64 v[42:43], v[74:75], v[50:51]
	v_mul_f64 v[46:47], v[72:73], v[50:51]
	v_add_f64 v[50:51], v[52:53], -v[60:61]
	v_add_f64 v[62:63], v[56:57], -v[64:65]
	;; [unrolled: 1-line block ×4, first 2 shown]
	v_add_f64 v[52:53], v[52:53], v[60:61]
	v_add_f64 v[60:61], v[56:57], v[64:65]
	;; [unrolled: 1-line block ×4, first 2 shown]
	ds_read_b128 v[5:8], v21
	s_waitcnt lgkmcnt(0)
	s_barrier
	buffer_gl0_inv
	v_add_f64 v[70:71], v[32:33], v[34:35]
	v_add_f64 v[32:33], v[32:33], -v[34:35]
	v_add_f64 v[76:77], v[9:10], v[36:37]
	v_fma_f64 v[24:25], v[24:25], v[44:45], v[38:39]
	v_fma_f64 v[26:27], v[26:27], v[44:45], -v[40:41]
	v_fma_f64 v[38:39], v[72:73], v[48:49], v[42:43]
	v_fma_f64 v[40:41], v[74:75], v[48:49], -v[46:47]
	v_add_f64 v[9:10], v[9:10], -v[36:37]
	v_mul_f64 v[42:43], v[62:63], s[12:13]
	v_mul_f64 v[44:45], v[62:63], s[10:11]
	;; [unrolled: 1-line block ×5, first 2 shown]
	v_fma_f64 v[72:73], v[52:53], s[16:17], v[5:6]
	v_fma_f64 v[74:75], v[60:61], s[16:17], v[5:6]
	;; [unrolled: 1-line block ×4, first 2 shown]
	v_mul_f64 v[36:37], v[66:67], s[14:15]
	v_fma_f64 v[78:79], v[70:71], s[16:17], v[5:6]
	v_fma_f64 v[84:85], v[76:77], s[16:17], v[7:8]
	v_add_f64 v[86:87], v[24:25], v[38:39]
	v_add_f64 v[88:89], v[26:27], v[40:41]
	v_add_f64 v[24:25], v[24:25], -v[38:39]
	v_fma_f64 v[38:39], v[50:51], s[10:11], v[42:43]
	v_fma_f64 v[42:43], v[32:33], s[12:13], -v[44:45]
	v_add_f64 v[26:27], v[26:27], -v[40:41]
	v_fma_f64 v[40:41], v[66:67], s[10:11], v[46:47]
	v_fma_f64 v[44:45], v[9:10], s[12:13], -v[48:49]
	v_fma_f64 v[46:47], v[70:71], s[22:23], v[72:73]
	v_fma_f64 v[48:49], v[52:53], s[22:23], v[74:75]
	v_add_f64 v[74:75], v[70:71], v[52:53]
	v_fma_f64 v[34:35], v[32:33], s[10:11], v[34:35]
	v_fma_f64 v[36:37], v[9:10], s[10:11], v[36:37]
	;; [unrolled: 1-line block ×6, first 2 shown]
	v_add_f64 v[84:85], v[76:77], v[28:29]
	v_add_f64 v[90:91], v[5:6], v[86:87]
	;; [unrolled: 1-line block ×3, first 2 shown]
	v_fma_f64 v[38:39], v[24:25], s[6:7], v[38:39]
	v_fma_f64 v[40:41], v[26:27], s[6:7], v[40:41]
	v_fma_f64 v[46:47], v[86:87], -0.5, v[46:47]
	v_fma_f64 v[48:49], v[86:87], -0.5, v[48:49]
	v_fma_f64 v[34:35], v[24:25], s[0:1], v[34:35]
	v_fma_f64 v[24:25], v[24:25], s[0:1], v[42:43]
	v_add_f64 v[42:43], v[62:63], v[50:51]
	v_fma_f64 v[36:37], v[26:27], s[0:1], v[36:37]
	v_fma_f64 v[26:27], v[26:27], s[0:1], v[44:45]
	v_add_f64 v[44:45], v[68:69], v[66:67]
	v_fma_f64 v[72:73], v[86:87], -0.5, v[72:73]
	v_add_f64 v[86:87], v[86:87], v[74:75]
	v_fma_f64 v[78:79], v[88:89], -0.5, v[78:79]
	v_fma_f64 v[80:81], v[88:89], -0.5, v[80:81]
	v_fma_f64 v[82:83], v[88:89], -0.5, v[82:83]
	v_add_f64 v[88:89], v[88:89], v[84:85]
	v_add_f64 v[74:75], v[60:61], v[74:75]
	;; [unrolled: 1-line block ×3, first 2 shown]
	v_fma_f64 v[46:47], v[60:61], s[18:19], v[46:47]
	v_fma_f64 v[60:61], v[62:63], s[20:21], v[34:35]
	v_fma_f64 v[62:63], v[32:33], s[20:21], v[38:39]
	v_add_f64 v[42:43], v[42:43], -v[32:33]
	v_fma_f64 v[50:51], v[50:51], s[20:21], v[24:25]
	v_fma_f64 v[66:67], v[66:67], s[20:21], v[26:27]
	v_add_f64 v[44:45], v[44:45], -v[9:10]
	v_fma_f64 v[32:33], v[52:53], s[18:19], v[72:73]
	v_add_f64 v[56:57], v[56:57], v[86:87]
	v_fma_f64 v[68:69], v[68:69], s[20:21], v[36:37]
	v_fma_f64 v[9:10], v[9:10], s[20:21], v[40:41]
	;; [unrolled: 1-line block ×3, first 2 shown]
	v_add_f64 v[58:59], v[58:59], v[88:89]
	v_fma_f64 v[74:75], v[74:75], -0.5, v[90:91]
	v_fma_f64 v[84:85], v[84:85], -0.5, v[92:93]
	v_fma_f64 v[36:37], v[70:71], s[18:19], v[48:49]
	v_fma_f64 v[38:39], v[76:77], s[18:19], v[80:81]
	;; [unrolled: 1-line block ×3, first 2 shown]
	v_mul_f64 v[48:49], v[42:43], s[0:1]
	v_mul_f64 v[52:53], v[44:45], s[0:1]
	v_add_f64 v[32:33], v[32:33], -v[66:67]
	v_add_f64 v[54:55], v[64:65], v[56:57]
	v_add_f64 v[28:29], v[46:47], -v[68:69]
	v_add_f64 v[34:35], v[50:51], v[34:35]
	v_add_f64 v[56:57], v[30:31], v[58:59]
	v_fma_f64 v[24:25], v[44:45], s[6:7], v[74:75]
	v_fma_f64 v[26:27], v[42:43], s[0:1], v[84:85]
	v_add_f64 v[36:37], v[36:37], -v[9:10]
	v_add_f64 v[38:39], v[62:63], v[38:39]
	v_add_f64 v[30:31], v[60:61], v[40:41]
	v_lshlrev_b32_e32 v58, 1, v12
	v_mov_b32_e32 v59, 0
	s_mov_b32 s6, 0xe8584caa
	v_lshlrev_b64 v[64:65], 4, v[58:59]
	v_lshlrev_b32_e32 v58, 1, v15
	v_add_f64 v[5:6], v[5:6], v[54:55]
	v_fma_f64 v[44:45], v[68:69], 2.0, v[28:29]
	v_add_co_u32 v2, s0, s8, v64
	v_add_f64 v[7:8], v[7:8], v[56:57]
	v_fma_f64 v[40:41], v[52:53], 2.0, v[24:25]
	v_fma_f64 v[42:43], v[48:49], -2.0, v[26:27]
	v_fma_f64 v[48:49], v[66:67], 2.0, v[32:33]
	v_fma_f64 v[50:51], v[50:51], -2.0, v[34:35]
	;; [unrolled: 2-line block ×3, first 2 shown]
	v_fma_f64 v[46:47], v[60:61], -2.0, v[30:31]
	v_add_co_ci_u32_e64 v3, s0, s9, v65, s0
	ds_write_b128 v11, v[24:27] offset:432
	ds_write_b128 v11, v[5:8]
	ds_write_b128 v11, v[28:31] offset:144
	ds_write_b128 v11, v[36:39] offset:288
	;; [unrolled: 1-line block ×7, first 2 shown]
	s_waitcnt lgkmcnt(0)
	s_barrier
	buffer_gl0_inv
	s_clause 0x1
	global_load_dwordx4 v[5:8], v[2:3], off offset:1152
	global_load_dwordx4 v[24:27], v[2:3], off offset:1168
	v_lshlrev_b64 v[9:10], 4, v[58:59]
	v_lshlrev_b32_e32 v58, 1, v17
	v_lshlrev_b64 v[28:29], 4, v[58:59]
	v_add_co_u32 v9, s0, s8, v9
	v_add_co_ci_u32_e64 v10, s0, s9, v10, s0
	v_add_co_u32 v2, s0, s8, v28
	v_add_co_ci_u32_e64 v3, s0, s9, v29, s0
	s_clause 0x3
	global_load_dwordx4 v[28:31], v[9:10], off offset:1152
	global_load_dwordx4 v[32:35], v[9:10], off offset:1168
	;; [unrolled: 1-line block ×4, first 2 shown]
	ds_read_b128 v[44:47], v1 offset:1296
	ds_read_b128 v[48:51], v1 offset:2592
	;; [unrolled: 1-line block ×5, first 2 shown]
	ds_read_b128 v[64:67], v21
	s_mov_b32 s0, s6
	s_waitcnt vmcnt(5) lgkmcnt(5)
	v_mul_f64 v[2:3], v[46:47], v[7:8]
	v_mul_f64 v[72:73], v[44:45], v[7:8]
	ds_read_b128 v[7:10], v1 offset:3456
	ds_read_b128 v[68:71], v22
	s_waitcnt vmcnt(4) lgkmcnt(6)
	v_mul_f64 v[74:75], v[50:51], v[26:27]
	v_mul_f64 v[26:27], v[48:49], v[26:27]
	s_waitcnt vmcnt(3) lgkmcnt(5)
	v_mul_f64 v[76:77], v[54:55], v[30:31]
	v_mul_f64 v[30:31], v[52:53], v[30:31]
	;; [unrolled: 3-line block ×4, first 2 shown]
	s_waitcnt vmcnt(0) lgkmcnt(1)
	v_mul_f64 v[82:83], v[9:10], v[42:43]
	v_fma_f64 v[2:3], v[44:45], v[5:6], v[2:3]
	v_fma_f64 v[44:45], v[46:47], v[5:6], -v[72:73]
	v_mul_f64 v[5:6], v[7:8], v[42:43]
	v_fma_f64 v[42:43], v[48:49], v[24:25], v[74:75]
	v_fma_f64 v[24:25], v[50:51], v[24:25], -v[26:27]
	v_fma_f64 v[26:27], v[52:53], v[28:29], v[76:77]
	v_fma_f64 v[28:29], v[54:55], v[28:29], -v[30:31]
	;; [unrolled: 2-line block ×4, first 2 shown]
	v_fma_f64 v[34:35], v[7:8], v[40:41], v[82:83]
	v_add_f64 v[56:57], v[64:65], v[2:3]
	v_add_f64 v[58:59], v[66:67], v[44:45]
	v_fma_f64 v[9:10], v[9:10], v[40:41], -v[5:6]
	v_add_f64 v[38:39], v[2:3], v[42:43]
	v_add_f64 v[40:41], v[44:45], v[24:25]
	ds_read_b128 v[5:8], v23
	v_add_f64 v[44:45], v[44:45], -v[24:25]
	v_add_f64 v[2:3], v[2:3], -v[42:43]
	s_waitcnt lgkmcnt(0)
	s_barrier
	buffer_gl0_inv
	v_add_f64 v[60:61], v[68:69], v[26:27]
	v_add_f64 v[62:63], v[70:71], v[28:29]
	;; [unrolled: 1-line block ×7, first 2 shown]
	v_fma_f64 v[38:39], v[38:39], -0.5, v[64:65]
	v_fma_f64 v[40:41], v[40:41], -0.5, v[66:67]
	v_add_f64 v[64:65], v[28:29], -v[30:31]
	v_add_f64 v[66:67], v[26:27], -v[46:47]
	v_add_f64 v[74:75], v[7:8], v[36:37]
	v_add_f64 v[26:27], v[62:63], v[30:31]
	v_fma_f64 v[48:49], v[48:49], -0.5, v[68:69]
	v_fma_f64 v[50:51], v[50:51], -0.5, v[70:71]
	v_add_f64 v[68:69], v[36:37], -v[9:10]
	v_add_f64 v[70:71], v[32:33], -v[34:35]
	v_fma_f64 v[52:53], v[52:53], -0.5, v[5:6]
	v_add_f64 v[5:6], v[56:57], v[42:43]
	v_fma_f64 v[54:55], v[54:55], -0.5, v[7:8]
	v_add_f64 v[7:8], v[58:59], v[24:25]
	v_add_f64 v[28:29], v[72:73], v[34:35]
	v_fma_f64 v[32:33], v[44:45], s[6:7], v[38:39]
	v_fma_f64 v[34:35], v[2:3], s[0:1], v[40:41]
	;; [unrolled: 1-line block ×4, first 2 shown]
	v_add_f64 v[24:25], v[60:61], v[46:47]
	v_add_f64 v[30:31], v[74:75], v[9:10]
                                        ; implicit-def: $vgpr2_vgpr3
	v_fma_f64 v[40:41], v[64:65], s[6:7], v[48:49]
	v_fma_f64 v[42:43], v[66:67], s[0:1], v[50:51]
	;; [unrolled: 1-line block ×8, first 2 shown]
	ds_write_b128 v1, v[5:8]
	ds_write_b128 v1, v[32:35] offset:1296
	ds_write_b128 v1, v[36:39] offset:2592
	ds_write_b128 v22, v[24:27]
	ds_write_b128 v22, v[40:43] offset:1296
	ds_write_b128 v22, v[44:47] offset:2592
	;; [unrolled: 3-line block ×3, first 2 shown]
	s_waitcnt lgkmcnt(0)
	s_barrier
	buffer_gl0_inv
	ds_read_b128 v[8:11], v21
	v_sub_nc_u32_e32 v24, v20, v0
	v_cmp_ne_u16_e64 s0, 0, v19
	s_add_u32 s6, s8, 0xea0
	s_addc_u32 s7, s9, 0
                                        ; implicit-def: $vgpr6_vgpr7
	s_and_saveexec_b32 s1, s0
	s_xor_b32 s0, exec_lo, s1
	s_cbranch_execz .LBB0_6
; %bb.5:
	v_lshlrev_b32_sdwa v0, v4, v19 dst_sel:DWORD dst_unused:UNUSED_PAD src0_sel:DWORD src1_sel:WORD_0
	ds_read_b128 v[25:28], v24 offset:3888
	global_load_dwordx4 v[2:5], v0, s[6:7]
	s_waitcnt lgkmcnt(0)
	v_add_f64 v[0:1], v[8:9], -v[25:26]
	v_add_f64 v[6:7], v[10:11], v[27:28]
	v_add_f64 v[10:11], v[10:11], -v[27:28]
	v_mul_f64 v[27:28], v[0:1], 0.5
	v_add_f64 v[0:1], v[8:9], v[25:26]
	v_mul_f64 v[8:9], v[6:7], 0.5
	v_mul_f64 v[6:7], v[10:11], 0.5
	s_waitcnt vmcnt(0)
	v_mul_f64 v[10:11], v[27:28], v[4:5]
	v_fma_f64 v[25:26], v[8:9], v[4:5], v[6:7]
	v_fma_f64 v[29:30], v[0:1], 0.5, v[10:11]
	v_fma_f64 v[0:1], v[0:1], 0.5, -v[10:11]
	v_fma_f64 v[10:11], v[8:9], v[4:5], -v[6:7]
	v_fma_f64 v[6:7], -v[2:3], v[27:28], v[25:26]
	v_fma_f64 v[4:5], v[8:9], v[2:3], v[29:30]
	v_fma_f64 v[0:1], -v[8:9], v[2:3], v[0:1]
	v_fma_f64 v[2:3], -v[2:3], v[27:28], v[10:11]
                                        ; implicit-def: $vgpr8_vgpr9
.LBB0_6:
	s_andn2_saveexec_b32 s0, s0
	s_cbranch_execz .LBB0_8
; %bb.7:
	s_waitcnt lgkmcnt(0)
	v_add_f64 v[4:5], v[8:9], v[10:11]
	v_add_f64 v[0:1], v[8:9], -v[10:11]
	v_mov_b32_e32 v6, 0
	v_mov_b32_e32 v7, 0
	;; [unrolled: 1-line block ×4, first 2 shown]
.LBB0_8:
	s_or_b32 exec_lo, exec_lo, s0
	v_mov_b32_e32 v16, 0
	ds_write_b128 v21, v[4:7]
	ds_write_b128 v24, v[0:3] offset:3888
	s_mov_b32 s1, exec_lo
	s_waitcnt lgkmcnt(2)
	v_lshlrev_b64 v[8:9], 4, v[15:16]
	v_mov_b32_e32 v18, v16
	v_mov_b32_e32 v13, v16
	v_lshlrev_b64 v[17:18], 4, v[17:18]
	v_add_co_u32 v8, s0, s6, v8
	v_add_co_ci_u32_e64 v9, s0, s7, v9, s0
	v_lshlrev_b64 v[6:7], 4, v[12:13]
	v_add_co_u32 v17, s0, s6, v17
	global_load_dwordx4 v[8:11], v[8:9], off
	v_add_co_ci_u32_e64 v18, s0, s7, v18, s0
	v_add_co_u32 v0, s0, s6, v6
	v_add_co_ci_u32_e64 v1, s0, s7, v7, s0
	global_load_dwordx4 v[25:28], v[17:18], off
	ds_read_b128 v[2:5], v22
	ds_read_b128 v[15:18], v24 offset:3456
	global_load_dwordx4 v[29:32], v[0:1], off offset:1296
	s_waitcnt lgkmcnt(0)
	v_add_f64 v[6:7], v[2:3], -v[15:16]
	v_add_f64 v[33:34], v[4:5], v[17:18]
	v_add_f64 v[4:5], v[4:5], -v[17:18]
	v_add_f64 v[2:3], v[2:3], v[15:16]
	v_mul_f64 v[6:7], v[6:7], 0.5
	v_mul_f64 v[17:18], v[33:34], 0.5
	;; [unrolled: 1-line block ×3, first 2 shown]
	s_waitcnt vmcnt(2)
	v_mul_f64 v[15:16], v[6:7], v[10:11]
	v_fma_f64 v[33:34], v[17:18], v[10:11], v[4:5]
	v_fma_f64 v[10:11], v[17:18], v[10:11], -v[4:5]
	v_fma_f64 v[35:36], v[2:3], 0.5, v[15:16]
	v_fma_f64 v[15:16], v[2:3], 0.5, -v[15:16]
	v_fma_f64 v[4:5], -v[8:9], v[6:7], v[33:34]
	v_fma_f64 v[10:11], -v[8:9], v[6:7], v[10:11]
	v_fma_f64 v[2:3], v[17:18], v[8:9], v[35:36]
	v_fma_f64 v[8:9], -v[17:18], v[8:9], v[15:16]
	ds_write_b128 v22, v[2:5]
	ds_write_b128 v24, v[8:11] offset:3456
	ds_read_b128 v[2:5], v23
	ds_read_b128 v[6:9], v24 offset:3024
	s_waitcnt lgkmcnt(0)
	v_add_f64 v[10:11], v[2:3], -v[6:7]
	v_add_f64 v[15:16], v[4:5], v[8:9]
	v_add_f64 v[4:5], v[4:5], -v[8:9]
	v_add_f64 v[2:3], v[2:3], v[6:7]
	v_mul_f64 v[8:9], v[10:11], 0.5
	v_mul_f64 v[10:11], v[15:16], 0.5
	;; [unrolled: 1-line block ×3, first 2 shown]
	s_waitcnt vmcnt(1)
	v_mul_f64 v[6:7], v[8:9], v[27:28]
	v_fma_f64 v[15:16], v[10:11], v[27:28], v[4:5]
	v_fma_f64 v[17:18], v[10:11], v[27:28], -v[4:5]
	v_fma_f64 v[27:28], v[2:3], 0.5, v[6:7]
	v_fma_f64 v[6:7], v[2:3], 0.5, -v[6:7]
	v_fma_f64 v[4:5], -v[25:26], v[8:9], v[15:16]
	v_fma_f64 v[8:9], -v[25:26], v[8:9], v[17:18]
	v_fma_f64 v[2:3], v[10:11], v[25:26], v[27:28]
	v_fma_f64 v[6:7], -v[10:11], v[25:26], v[6:7]
	ds_write_b128 v23, v[2:5]
	ds_write_b128 v24, v[6:9] offset:3024
	ds_read_b128 v[2:5], v21 offset:1296
	ds_read_b128 v[6:9], v24 offset:2592
	s_waitcnt lgkmcnt(0)
	v_add_f64 v[10:11], v[2:3], -v[6:7]
	v_add_f64 v[15:16], v[4:5], v[8:9]
	v_add_f64 v[4:5], v[4:5], -v[8:9]
	v_add_f64 v[2:3], v[2:3], v[6:7]
	v_mul_f64 v[8:9], v[10:11], 0.5
	v_mul_f64 v[10:11], v[15:16], 0.5
	;; [unrolled: 1-line block ×3, first 2 shown]
	s_waitcnt vmcnt(0)
	v_mul_f64 v[6:7], v[8:9], v[31:32]
	v_fma_f64 v[15:16], v[10:11], v[31:32], v[4:5]
	v_fma_f64 v[17:18], v[10:11], v[31:32], -v[4:5]
	v_fma_f64 v[22:23], v[2:3], 0.5, v[6:7]
	v_fma_f64 v[6:7], v[2:3], 0.5, -v[6:7]
	v_fma_f64 v[4:5], -v[29:30], v[8:9], v[15:16]
	v_fma_f64 v[8:9], -v[29:30], v[8:9], v[17:18]
	v_fma_f64 v[2:3], v[10:11], v[29:30], v[22:23]
	v_fma_f64 v[6:7], -v[10:11], v[29:30], v[6:7]
	ds_write_b128 v21, v[2:5] offset:1296
	ds_write_b128 v24, v[6:9] offset:2592
	v_cmpx_gt_u16_e32 14, v19
	s_cbranch_execz .LBB0_10
; %bb.9:
	global_load_dwordx4 v[0:3], v[0:1], off offset:1728
	ds_read_b128 v[4:7], v21 offset:1728
	ds_read_b128 v[8:11], v24 offset:2160
	s_waitcnt lgkmcnt(0)
	v_add_f64 v[15:16], v[4:5], -v[8:9]
	v_add_f64 v[17:18], v[6:7], v[10:11]
	v_add_f64 v[6:7], v[6:7], -v[10:11]
	v_add_f64 v[4:5], v[4:5], v[8:9]
	v_mul_f64 v[10:11], v[15:16], 0.5
	v_mul_f64 v[15:16], v[17:18], 0.5
	;; [unrolled: 1-line block ×3, first 2 shown]
	s_waitcnt vmcnt(0)
	v_mul_f64 v[8:9], v[10:11], v[2:3]
	v_fma_f64 v[17:18], v[15:16], v[2:3], v[6:7]
	v_fma_f64 v[2:3], v[15:16], v[2:3], -v[6:7]
	v_fma_f64 v[6:7], v[4:5], 0.5, v[8:9]
	v_fma_f64 v[22:23], v[4:5], 0.5, -v[8:9]
	v_fma_f64 v[4:5], -v[0:1], v[10:11], v[17:18]
	v_fma_f64 v[8:9], -v[0:1], v[10:11], v[2:3]
	v_fma_f64 v[2:3], v[15:16], v[0:1], v[6:7]
	v_fma_f64 v[6:7], -v[15:16], v[0:1], v[22:23]
	ds_write_b128 v21, v[2:5] offset:1728
	ds_write_b128 v24, v[6:9] offset:2160
.LBB0_10:
	s_or_b32 exec_lo, exec_lo, s1
	s_waitcnt lgkmcnt(0)
	s_barrier
	buffer_gl0_inv
	s_and_saveexec_b32 s0, vcc_lo
	s_cbranch_execz .LBB0_13
; %bb.11:
	v_mad_u64_u32 v[1:2], null, s2, v14, 0
	s_load_dwordx2 s[0:1], s[4:5], 0x58
	v_mov_b32_e32 v13, 0
	v_add_nc_u32_e32 v22, 27, v12
	v_add_nc_u32_e32 v24, 54, v12
	;; [unrolled: 1-line block ×4, first 2 shown]
	v_mov_b32_e32 v0, v2
	v_mov_b32_e32 v23, v13
	v_lshlrev_b64 v[30:31], 4, v[12:13]
	v_mov_b32_e32 v25, v13
	v_mov_b32_e32 v27, v13
	v_mad_u64_u32 v[2:3], null, s3, v14, v[0:1]
	v_lshl_add_u32 v0, v12, 4, v20
	v_lshlrev_b64 v[22:23], 4, v[22:23]
	v_lshlrev_b64 v[34:35], 4, v[24:25]
	ds_read_b128 v[3:6], v0
	ds_read_b128 v[7:10], v0 offset:432
	v_lshlrev_b64 v[1:2], 4, v[1:2]
	ds_read_b128 v[14:17], v0 offset:864
	ds_read_b128 v[18:21], v0 offset:1296
	v_mov_b32_e32 v29, v13
	v_lshlrev_b64 v[26:27], 4, v[26:27]
	s_waitcnt lgkmcnt(0)
	v_add_co_u32 v1, vcc_lo, s0, v1
	v_add_co_ci_u32_e32 v2, vcc_lo, s1, v2, vcc_lo
	v_add_co_u32 v30, vcc_lo, v1, v30
	v_add_co_ci_u32_e32 v31, vcc_lo, v2, v31, vcc_lo
	;; [unrolled: 2-line block ×3, first 2 shown]
	ds_read_b128 v[22:25], v0 offset:1728
	global_store_dwordx4 v[30:31], v[3:6], off
	global_store_dwordx4 v[32:33], v[7:10], off
	v_add_co_u32 v3, vcc_lo, v1, v34
	v_lshlrev_b64 v[5:6], 4, v[28:29]
	v_add_co_ci_u32_e32 v4, vcc_lo, v2, v35, vcc_lo
	v_add_co_u32 v7, vcc_lo, v1, v26
	v_add_co_ci_u32_e32 v8, vcc_lo, v2, v27, vcc_lo
	v_add_nc_u32_e32 v26, 0x87, v12
	v_mov_b32_e32 v27, v13
	v_add_co_u32 v9, vcc_lo, v1, v5
	v_add_co_ci_u32_e32 v10, vcc_lo, v2, v6, vcc_lo
	global_store_dwordx4 v[3:4], v[14:17], off
	global_store_dwordx4 v[7:8], v[18:21], off
	v_lshlrev_b64 v[7:8], 4, v[26:27]
	v_add_nc_u32_e32 v18, 0xbd, v12
	s_waitcnt lgkmcnt(0)
	global_store_dwordx4 v[9:10], v[22:25], off
	v_add_nc_u32_e32 v9, 0xa2, v12
	v_mov_b32_e32 v10, v13
	v_mov_b32_e32 v19, v13
	v_add_co_u32 v22, vcc_lo, v1, v7
	ds_read_b128 v[3:6], v0 offset:2160
	v_add_co_ci_u32_e32 v23, vcc_lo, v2, v8, vcc_lo
	v_lshlrev_b64 v[24:25], 4, v[9:10]
	ds_read_b128 v[7:10], v0 offset:2592
	ds_read_b128 v[14:17], v0 offset:3024
	v_add_nc_u32_e32 v28, 0xd8, v12
	v_lshlrev_b64 v[26:27], 4, v[18:19]
	ds_read_b128 v[18:21], v0 offset:3456
	v_add_co_u32 v24, vcc_lo, v1, v24
	v_lshlrev_b64 v[28:29], 4, v[28:29]
	v_add_co_ci_u32_e32 v25, vcc_lo, v2, v25, vcc_lo
	v_add_co_u32 v26, vcc_lo, v1, v26
	v_add_co_ci_u32_e32 v27, vcc_lo, v2, v27, vcc_lo
	v_add_co_u32 v28, vcc_lo, v1, v28
	v_add_co_ci_u32_e32 v29, vcc_lo, v2, v29, vcc_lo
	v_cmp_eq_u32_e32 vcc_lo, 26, v12
	s_waitcnt lgkmcnt(3)
	global_store_dwordx4 v[22:23], v[3:6], off
	s_waitcnt lgkmcnt(2)
	global_store_dwordx4 v[24:25], v[7:10], off
	;; [unrolled: 2-line block ×4, first 2 shown]
	s_and_b32 exec_lo, exec_lo, vcc_lo
	s_cbranch_execz .LBB0_13
; %bb.12:
	ds_read_b128 v[3:6], v0 offset:3472
	v_add_co_u32 v0, vcc_lo, 0x800, v1
	v_add_co_ci_u32_e32 v1, vcc_lo, 0, v2, vcc_lo
	s_waitcnt lgkmcnt(0)
	global_store_dwordx4 v[0:1], v[3:6], off offset:1840
.LBB0_13:
	s_endpgm
	.section	.rodata,"a",@progbits
	.p2align	6, 0x0
	.amdhsa_kernel fft_rtc_back_len243_factors_9_9_3_wgs_108_tpt_27_halfLds_dim1_dp_op_CI_CI_unitstride_sbrr_R2C_dirReg
		.amdhsa_group_segment_fixed_size 0
		.amdhsa_private_segment_fixed_size 0
		.amdhsa_kernarg_size 96
		.amdhsa_user_sgpr_count 6
		.amdhsa_user_sgpr_private_segment_buffer 1
		.amdhsa_user_sgpr_dispatch_ptr 0
		.amdhsa_user_sgpr_queue_ptr 0
		.amdhsa_user_sgpr_kernarg_segment_ptr 1
		.amdhsa_user_sgpr_dispatch_id 0
		.amdhsa_user_sgpr_flat_scratch_init 0
		.amdhsa_user_sgpr_private_segment_size 0
		.amdhsa_wavefront_size32 1
		.amdhsa_uses_dynamic_stack 0
		.amdhsa_system_sgpr_private_segment_wavefront_offset 0
		.amdhsa_system_sgpr_workgroup_id_x 1
		.amdhsa_system_sgpr_workgroup_id_y 0
		.amdhsa_system_sgpr_workgroup_id_z 0
		.amdhsa_system_sgpr_workgroup_info 0
		.amdhsa_system_vgpr_workitem_id 0
		.amdhsa_next_free_vgpr 94
		.amdhsa_next_free_sgpr 24
		.amdhsa_reserve_vcc 1
		.amdhsa_reserve_flat_scratch 0
		.amdhsa_float_round_mode_32 0
		.amdhsa_float_round_mode_16_64 0
		.amdhsa_float_denorm_mode_32 3
		.amdhsa_float_denorm_mode_16_64 3
		.amdhsa_dx10_clamp 1
		.amdhsa_ieee_mode 1
		.amdhsa_fp16_overflow 0
		.amdhsa_workgroup_processor_mode 1
		.amdhsa_memory_ordered 1
		.amdhsa_forward_progress 0
		.amdhsa_shared_vgpr_count 0
		.amdhsa_exception_fp_ieee_invalid_op 0
		.amdhsa_exception_fp_denorm_src 0
		.amdhsa_exception_fp_ieee_div_zero 0
		.amdhsa_exception_fp_ieee_overflow 0
		.amdhsa_exception_fp_ieee_underflow 0
		.amdhsa_exception_fp_ieee_inexact 0
		.amdhsa_exception_int_div_zero 0
	.end_amdhsa_kernel
	.text
.Lfunc_end0:
	.size	fft_rtc_back_len243_factors_9_9_3_wgs_108_tpt_27_halfLds_dim1_dp_op_CI_CI_unitstride_sbrr_R2C_dirReg, .Lfunc_end0-fft_rtc_back_len243_factors_9_9_3_wgs_108_tpt_27_halfLds_dim1_dp_op_CI_CI_unitstride_sbrr_R2C_dirReg
                                        ; -- End function
	.section	.AMDGPU.csdata,"",@progbits
; Kernel info:
; codeLenInByte = 5684
; NumSgprs: 26
; NumVgprs: 94
; ScratchSize: 0
; MemoryBound: 0
; FloatMode: 240
; IeeeMode: 1
; LDSByteSize: 0 bytes/workgroup (compile time only)
; SGPRBlocks: 3
; VGPRBlocks: 11
; NumSGPRsForWavesPerEU: 26
; NumVGPRsForWavesPerEU: 94
; Occupancy: 10
; WaveLimiterHint : 1
; COMPUTE_PGM_RSRC2:SCRATCH_EN: 0
; COMPUTE_PGM_RSRC2:USER_SGPR: 6
; COMPUTE_PGM_RSRC2:TRAP_HANDLER: 0
; COMPUTE_PGM_RSRC2:TGID_X_EN: 1
; COMPUTE_PGM_RSRC2:TGID_Y_EN: 0
; COMPUTE_PGM_RSRC2:TGID_Z_EN: 0
; COMPUTE_PGM_RSRC2:TIDIG_COMP_CNT: 0
	.text
	.p2alignl 6, 3214868480
	.fill 48, 4, 3214868480
	.type	__hip_cuid_3c1131fdfb19afd9,@object ; @__hip_cuid_3c1131fdfb19afd9
	.section	.bss,"aw",@nobits
	.globl	__hip_cuid_3c1131fdfb19afd9
__hip_cuid_3c1131fdfb19afd9:
	.byte	0                               ; 0x0
	.size	__hip_cuid_3c1131fdfb19afd9, 1

	.ident	"AMD clang version 19.0.0git (https://github.com/RadeonOpenCompute/llvm-project roc-6.4.0 25133 c7fe45cf4b819c5991fe208aaa96edf142730f1d)"
	.section	".note.GNU-stack","",@progbits
	.addrsig
	.addrsig_sym __hip_cuid_3c1131fdfb19afd9
	.amdgpu_metadata
---
amdhsa.kernels:
  - .args:
      - .actual_access:  read_only
        .address_space:  global
        .offset:         0
        .size:           8
        .value_kind:     global_buffer
      - .actual_access:  read_only
        .address_space:  global
        .offset:         8
        .size:           8
        .value_kind:     global_buffer
      - .actual_access:  read_only
        .address_space:  global
        .offset:         16
        .size:           8
        .value_kind:     global_buffer
      - .actual_access:  read_only
        .address_space:  global
        .offset:         24
        .size:           8
        .value_kind:     global_buffer
      - .offset:         32
        .size:           8
        .value_kind:     by_value
      - .actual_access:  read_only
        .address_space:  global
        .offset:         40
        .size:           8
        .value_kind:     global_buffer
      - .actual_access:  read_only
        .address_space:  global
        .offset:         48
        .size:           8
        .value_kind:     global_buffer
      - .offset:         56
        .size:           4
        .value_kind:     by_value
      - .actual_access:  read_only
        .address_space:  global
        .offset:         64
        .size:           8
        .value_kind:     global_buffer
      - .actual_access:  read_only
        .address_space:  global
        .offset:         72
        .size:           8
        .value_kind:     global_buffer
      - .actual_access:  read_only
        .address_space:  global
        .offset:         80
        .size:           8
        .value_kind:     global_buffer
      - .actual_access:  write_only
        .address_space:  global
        .offset:         88
        .size:           8
        .value_kind:     global_buffer
    .group_segment_fixed_size: 0
    .kernarg_segment_align: 8
    .kernarg_segment_size: 96
    .language:       OpenCL C
    .language_version:
      - 2
      - 0
    .max_flat_workgroup_size: 108
    .name:           fft_rtc_back_len243_factors_9_9_3_wgs_108_tpt_27_halfLds_dim1_dp_op_CI_CI_unitstride_sbrr_R2C_dirReg
    .private_segment_fixed_size: 0
    .sgpr_count:     26
    .sgpr_spill_count: 0
    .symbol:         fft_rtc_back_len243_factors_9_9_3_wgs_108_tpt_27_halfLds_dim1_dp_op_CI_CI_unitstride_sbrr_R2C_dirReg.kd
    .uniform_work_group_size: 1
    .uses_dynamic_stack: false
    .vgpr_count:     94
    .vgpr_spill_count: 0
    .wavefront_size: 32
    .workgroup_processor_mode: 1
amdhsa.target:   amdgcn-amd-amdhsa--gfx1030
amdhsa.version:
  - 1
  - 2
...

	.end_amdgpu_metadata
